;; amdgpu-corpus repo=zjin-lcf/HeCBench kind=compiled arch=gfx90a opt=O3
	.text
	.amdgcn_target "amdgcn-amd-amdhsa--gfx90a"
	.amdhsa_code_object_version 6
	.protected	_Z11firstColGPUPji      ; -- Begin function _Z11firstColGPUPji
	.globl	_Z11firstColGPUPji
	.p2align	8
	.type	_Z11firstColGPUPji,@function
_Z11firstColGPUPji:                     ; @_Z11firstColGPUPji
; %bb.0:
	s_load_dwordx2 s[2:3], s[4:5], 0x0
	s_load_dword s0, s[4:5], 0x8
	v_lshlrev_b32_e32 v2, 2, v0
	s_waitcnt lgkmcnt(0)
	global_load_dword v1, v2, s[2:3]
	s_cmpk_lt_i32 s0, 0x200
	s_waitcnt vmcnt(0)
	ds_write_b32 v2, v1
	s_waitcnt lgkmcnt(0)
	s_barrier
	s_cbranch_scc1 .LBB0_19
; %bb.1:
	s_lshr_b32 s4, s0, 8
	v_cmp_gt_u32_e64 s[0:1], 32, v0
	v_mov_b32_e32 v0, s3
	v_add_co_u32_e32 v1, vcc, s2, v2
	v_addc_co_u32_e32 v21, vcc, 0, v0, vcc
	v_add_co_u32_e32 v0, vcc, 0x400, v1
	v_add_u32_e32 v3, 0x400, v2
	v_add_u32_e32 v4, 0x480, v2
	;; [unrolled: 1-line block ×18, first 2 shown]
	v_addc_co_u32_e32 v1, vcc, 0, v21, vcc
	s_add_i32 s4, s4, -1
	s_branch .LBB0_3
.LBB0_2:                                ;   in Loop: Header=BB0_3 Depth=1
	s_or_b64 exec, exec, s[2:3]
	s_waitcnt lgkmcnt(0)
	s_barrier
	ds_read_b32 v21, v2 offset:1024
	s_add_i32 s4, s4, -1
	s_cmp_eq_u32 s4, 0
	s_waitcnt lgkmcnt(0)
	global_store_dword v[0:1], v21, off
	v_add_co_u32_e32 v0, vcc, 0x400, v0
	v_addc_co_u32_e32 v1, vcc, 0, v1, vcc
	ds_write_b32 v2, v21
	s_waitcnt lgkmcnt(0)
	s_barrier
	s_cbranch_scc1 .LBB0_19
.LBB0_3:                                ; =>This Inner Loop Header: Depth=1
	s_and_saveexec_b64 s[2:3], s[0:1]
	s_cbranch_execz .LBB0_5
; %bb.4:                                ;   in Loop: Header=BB0_3 Depth=1
	ds_read2_b32 v[22:23], v2 offset0:137 offset1:201
	ds_read2_b32 v[24:25], v2 offset1:77
	s_waitcnt lgkmcnt(1)
	v_add_u32_e32 v21, v22, v23
	s_waitcnt lgkmcnt(0)
	v_add3_u32 v21, v21, v25, v24
	ds_write_b32 v2, v21 offset:1024
.LBB0_5:                                ;   in Loop: Header=BB0_3 Depth=1
	s_or_b64 exec, exec, s[2:3]
	s_waitcnt lgkmcnt(0)
	s_barrier
	s_and_saveexec_b64 s[2:3], s[0:1]
	s_cbranch_execz .LBB0_7
; %bb.6:                                ;   in Loop: Header=BB0_3 Depth=1
	ds_read_b32 v21, v5
	ds_read_b32 v22, v7
	;; [unrolled: 1-line block ×3, first 2 shown]
	ds_read_b32 v24, v2 offset:128
	s_waitcnt lgkmcnt(1)
	v_add_u32_e32 v21, v23, v21
	s_waitcnt lgkmcnt(0)
	v_add3_u32 v21, v21, v22, v24
	ds_write_b32 v4, v21
.LBB0_7:                                ;   in Loop: Header=BB0_3 Depth=1
	s_or_b64 exec, exec, s[2:3]
	s_waitcnt lgkmcnt(0)
	s_barrier
	s_and_saveexec_b64 s[2:3], s[0:1]
	s_cbranch_execz .LBB0_9
; %bb.8:                                ;   in Loop: Header=BB0_3 Depth=1
	ds_read_b32 v21, v9
	ds_read_b32 v22, v11
	;; [unrolled: 1-line block ×3, first 2 shown]
	ds_read_b32 v24, v2 offset:256
	s_waitcnt lgkmcnt(1)
	v_add_u32_e32 v21, v23, v21
	s_waitcnt lgkmcnt(0)
	v_add3_u32 v21, v21, v22, v24
	ds_write_b32 v8, v21
.LBB0_9:                                ;   in Loop: Header=BB0_3 Depth=1
	s_or_b64 exec, exec, s[2:3]
	s_waitcnt lgkmcnt(0)
	s_barrier
	s_and_saveexec_b64 s[2:3], s[0:1]
	s_cbranch_execz .LBB0_11
; %bb.10:                               ;   in Loop: Header=BB0_3 Depth=1
	ds_read_b32 v21, v13
	ds_read_b32 v22, v14
	ds_read_b32 v23, v5
	ds_read_b32 v24, v2 offset:384
	s_waitcnt lgkmcnt(1)
	v_add_u32_e32 v21, v23, v21
	s_waitcnt lgkmcnt(0)
	v_add3_u32 v21, v21, v22, v24
	ds_write_b32 v12, v21
.LBB0_11:                               ;   in Loop: Header=BB0_3 Depth=1
	s_or_b64 exec, exec, s[2:3]
	s_waitcnt lgkmcnt(0)
	s_barrier
	s_and_saveexec_b64 s[2:3], s[0:1]
	s_cbranch_execz .LBB0_13
; %bb.12:                               ;   in Loop: Header=BB0_3 Depth=1
	ds_read_b32 v21, v9
	ds_read_b32 v22, v17
	ds_read_b32 v23, v16
	ds_read_b32 v24, v2 offset:512
	s_waitcnt lgkmcnt(1)
	v_add_u32_e32 v21, v21, v23
	s_waitcnt lgkmcnt(0)
	v_add3_u32 v21, v21, v22, v24
	ds_write_b32 v15, v21
.LBB0_13:                               ;   in Loop: Header=BB0_3 Depth=1
	;; [unrolled: 16-line block ×3, first 2 shown]
	s_or_b64 exec, exec, s[2:3]
	s_waitcnt lgkmcnt(0)
	s_barrier
	s_and_saveexec_b64 s[2:3], s[0:1]
	s_cbranch_execz .LBB0_17
; %bb.16:                               ;   in Loop: Header=BB0_3 Depth=1
	ds_read2_b32 v[22:23], v3 offset0:13 offset1:73
	ds_read_b32 v21, v3 offset:548
	ds_read_b32 v24, v2 offset:768
	s_waitcnt lgkmcnt(1)
	v_add_u32_e32 v21, v23, v21
	s_waitcnt lgkmcnt(0)
	v_add3_u32 v21, v21, v22, v24
	ds_write_b32 v3, v21 offset:768
.LBB0_17:                               ;   in Loop: Header=BB0_3 Depth=1
	s_or_b64 exec, exec, s[2:3]
	s_waitcnt lgkmcnt(0)
	s_barrier
	s_and_saveexec_b64 s[2:3], s[0:1]
	s_cbranch_execz .LBB0_2
; %bb.18:                               ;   in Loop: Header=BB0_3 Depth=1
	ds_read2_b32 v[22:23], v3 offset0:45 offset1:105
	ds_read_b32 v21, v3 offset:676
	ds_read_b32 v24, v2 offset:896
	s_waitcnt lgkmcnt(1)
	v_add_u32_e32 v21, v23, v21
	s_waitcnt lgkmcnt(0)
	v_add3_u32 v21, v21, v22, v24
	ds_write_b32 v3, v21 offset:896
	s_branch .LBB0_2
.LBB0_19:
	s_endpgm
	.section	.rodata,"a",@progbits
	.p2align	6, 0x0
	.amdhsa_kernel _Z11firstColGPUPji
		.amdhsa_group_segment_fixed_size 2048
		.amdhsa_private_segment_fixed_size 0
		.amdhsa_kernarg_size 12
		.amdhsa_user_sgpr_count 6
		.amdhsa_user_sgpr_private_segment_buffer 1
		.amdhsa_user_sgpr_dispatch_ptr 0
		.amdhsa_user_sgpr_queue_ptr 0
		.amdhsa_user_sgpr_kernarg_segment_ptr 1
		.amdhsa_user_sgpr_dispatch_id 0
		.amdhsa_user_sgpr_flat_scratch_init 0
		.amdhsa_user_sgpr_kernarg_preload_length 0
		.amdhsa_user_sgpr_kernarg_preload_offset 0
		.amdhsa_user_sgpr_private_segment_size 0
		.amdhsa_uses_dynamic_stack 0
		.amdhsa_system_sgpr_private_segment_wavefront_offset 0
		.amdhsa_system_sgpr_workgroup_id_x 1
		.amdhsa_system_sgpr_workgroup_id_y 0
		.amdhsa_system_sgpr_workgroup_id_z 0
		.amdhsa_system_sgpr_workgroup_info 0
		.amdhsa_system_vgpr_workitem_id 0
		.amdhsa_next_free_vgpr 26
		.amdhsa_next_free_sgpr 6
		.amdhsa_accum_offset 28
		.amdhsa_reserve_vcc 1
		.amdhsa_reserve_flat_scratch 0
		.amdhsa_float_round_mode_32 0
		.amdhsa_float_round_mode_16_64 0
		.amdhsa_float_denorm_mode_32 3
		.amdhsa_float_denorm_mode_16_64 3
		.amdhsa_dx10_clamp 1
		.amdhsa_ieee_mode 1
		.amdhsa_fp16_overflow 0
		.amdhsa_tg_split 0
		.amdhsa_exception_fp_ieee_invalid_op 0
		.amdhsa_exception_fp_denorm_src 0
		.amdhsa_exception_fp_ieee_div_zero 0
		.amdhsa_exception_fp_ieee_overflow 0
		.amdhsa_exception_fp_ieee_underflow 0
		.amdhsa_exception_fp_ieee_inexact 0
		.amdhsa_exception_int_div_zero 0
	.end_amdhsa_kernel
	.text
.Lfunc_end0:
	.size	_Z11firstColGPUPji, .Lfunc_end0-_Z11firstColGPUPji
                                        ; -- End function
	.section	.AMDGPU.csdata,"",@progbits
; Kernel info:
; codeLenInByte = 924
; NumSgprs: 10
; NumVgprs: 26
; NumAgprs: 0
; TotalNumVgprs: 26
; ScratchSize: 0
; MemoryBound: 0
; FloatMode: 240
; IeeeMode: 1
; LDSByteSize: 2048 bytes/workgroup (compile time only)
; SGPRBlocks: 1
; VGPRBlocks: 3
; NumSGPRsForWavesPerEU: 10
; NumVGPRsForWavesPerEU: 26
; AccumOffset: 28
; Occupancy: 8
; WaveLimiterHint : 0
; COMPUTE_PGM_RSRC2:SCRATCH_EN: 0
; COMPUTE_PGM_RSRC2:USER_SGPR: 6
; COMPUTE_PGM_RSRC2:TRAP_HANDLER: 0
; COMPUTE_PGM_RSRC2:TGID_X_EN: 1
; COMPUTE_PGM_RSRC2:TGID_Y_EN: 0
; COMPUTE_PGM_RSRC2:TGID_Z_EN: 0
; COMPUTE_PGM_RSRC2:TIDIG_COMP_CNT: 0
; COMPUTE_PGM_RSRC3_GFX90A:ACCUM_OFFSET: 6
; COMPUTE_PGM_RSRC3_GFX90A:TG_SPLIT: 0
	.text
	.protected	_Z7colYGPUPji           ; -- Begin function _Z7colYGPUPji
	.globl	_Z7colYGPUPji
	.p2align	8
	.type	_Z7colYGPUPji,@function
_Z7colYGPUPji:                          ; @_Z7colYGPUPji
; %bb.0:
	s_load_dwordx2 s[2:3], s[4:5], 0x0
	s_load_dword s0, s[4:5], 0x8
	v_lshlrev_b32_e32 v1, 2, v0
	s_waitcnt lgkmcnt(0)
	global_load_dword v4, v1, s[2:3] offset:2048
	v_mov_b32_e32 v3, s3
	v_add_co_u32_e32 v2, vcc, s2, v1
	s_cmpk_lt_i32 s0, 0x100
	v_addc_co_u32_e32 v3, vcc, 0, v3, vcc
	s_waitcnt vmcnt(0)
	ds_write_b32 v1, v4 offset:2048
	s_waitcnt lgkmcnt(0)
	s_barrier
	s_cbranch_scc1 .LBB1_19
; %bb.1:
	s_ashr_i32 s1, s0, 31
	s_lshr_b32 s1, s1, 24
	s_add_i32 s0, s0, s1
	s_ashr_i32 s2, s0, 8
	v_cmp_gt_u32_e32 vcc, 32, v0
	v_add_u32_e32 v0, 0x400, v1
	v_add_u32_e32 v4, 0x800, v1
	;; [unrolled: 1-line block ×26, first 2 shown]
	s_branch .LBB1_3
.LBB1_2:                                ;   in Loop: Header=BB1_3 Depth=1
	s_or_b64 exec, exec, s[0:1]
	s_add_i32 s2, s2, -1
	s_cmp_eq_u32 s2, 0
	s_waitcnt lgkmcnt(0)
	s_barrier
	s_cbranch_scc1 .LBB1_19
.LBB1_3:                                ; =>This Inner Loop Header: Depth=1
	ds_read2st64_b32 v[30:31], v1 offset0:4 offset1:8
	s_waitcnt lgkmcnt(0)
	ds_write2st64_b32 v1, v30, v31 offset1:4
	s_waitcnt lgkmcnt(0)
	s_barrier
	s_and_saveexec_b64 s[0:1], vcc
	s_cbranch_execz .LBB1_5
; %bb.4:                                ;   in Loop: Header=BB1_3 Depth=1
	ds_read2_b32 v[30:31], v0 offset0:77 offset1:137
	ds_read_b32 v29, v1 offset:1828
	ds_read_b32 v32, v0
	s_waitcnt lgkmcnt(1)
	v_add_u32_e32 v29, v31, v29
	s_waitcnt lgkmcnt(0)
	v_add3_u32 v29, v29, v30, v32
	ds_write_b32 v1, v29 offset:2048
.LBB1_5:                                ;   in Loop: Header=BB1_3 Depth=1
	s_or_b64 exec, exec, s[0:1]
	s_waitcnt lgkmcnt(0)
	s_barrier
	s_and_saveexec_b64 s[0:1], vcc
	s_cbranch_execz .LBB1_7
; %bb.6:                                ;   in Loop: Header=BB1_3 Depth=1
	ds_read_b32 v29, v7
	ds_read_b32 v30, v8
	;; [unrolled: 1-line block ×4, first 2 shown]
	s_waitcnt lgkmcnt(1)
	v_add_u32_e32 v29, v29, v31
	s_waitcnt lgkmcnt(0)
	v_add3_u32 v29, v29, v30, v32
	ds_write_b32 v5, v29
.LBB1_7:                                ;   in Loop: Header=BB1_3 Depth=1
	s_or_b64 exec, exec, s[0:1]
	s_waitcnt lgkmcnt(0)
	s_barrier
	s_and_saveexec_b64 s[0:1], vcc
	s_cbranch_execz .LBB1_9
; %bb.8:                                ;   in Loop: Header=BB1_3 Depth=1
	ds_read_b32 v29, v12
	ds_read_b32 v30, v13
	;; [unrolled: 1-line block ×4, first 2 shown]
	s_waitcnt lgkmcnt(1)
	v_add_u32_e32 v29, v29, v31
	s_waitcnt lgkmcnt(0)
	v_add3_u32 v29, v29, v30, v32
	ds_write_b32 v10, v29
.LBB1_9:                                ;   in Loop: Header=BB1_3 Depth=1
	s_or_b64 exec, exec, s[0:1]
	s_waitcnt lgkmcnt(0)
	s_barrier
	s_and_saveexec_b64 s[0:1], vcc
	s_cbranch_execz .LBB1_11
; %bb.10:                               ;   in Loop: Header=BB1_3 Depth=1
	ds_read_b32 v29, v6
	ds_read_b32 v30, v17
	ds_read_b32 v31, v16
	ds_read_b32 v32, v18
	s_waitcnt lgkmcnt(1)
	v_add_u32_e32 v29, v29, v31
	s_waitcnt lgkmcnt(0)
	v_add3_u32 v29, v29, v30, v32
	ds_write_b32 v15, v29
.LBB1_11:                               ;   in Loop: Header=BB1_3 Depth=1
	s_or_b64 exec, exec, s[0:1]
	s_waitcnt lgkmcnt(0)
	s_barrier
	s_and_saveexec_b64 s[0:1], vcc
	s_cbranch_execz .LBB1_13
; %bb.12:                               ;   in Loop: Header=BB1_3 Depth=1
	ds_read_b32 v29, v20
	ds_read_b32 v30, v11
	ds_read_b32 v31, v21
	ds_read_b32 v32, v22
	s_waitcnt lgkmcnt(2)
	v_add_u32_e32 v29, v30, v29
	s_waitcnt lgkmcnt(0)
	v_add3_u32 v29, v29, v31, v32
	ds_write_b32 v19, v29
.LBB1_13:                               ;   in Loop: Header=BB1_3 Depth=1
	;; [unrolled: 16-line block ×3, first 2 shown]
	s_or_b64 exec, exec, s[0:1]
	s_waitcnt lgkmcnt(0)
	s_barrier
	s_and_saveexec_b64 s[0:1], vcc
	s_cbranch_execz .LBB1_17
; %bb.16:                               ;   in Loop: Header=BB1_3 Depth=1
	ds_read2_b32 v[30:31], v4 offset0:13 offset1:73
	ds_read_b32 v29, v4 offset:548
	ds_read_b32 v32, v27
	s_waitcnt lgkmcnt(1)
	v_add_u32_e32 v29, v31, v29
	s_waitcnt lgkmcnt(0)
	v_add3_u32 v29, v29, v30, v32
	ds_write_b32 v4, v29 offset:768
.LBB1_17:                               ;   in Loop: Header=BB1_3 Depth=1
	s_or_b64 exec, exec, s[0:1]
	s_waitcnt lgkmcnt(0)
	s_barrier
	s_and_saveexec_b64 s[0:1], vcc
	s_cbranch_execz .LBB1_2
; %bb.18:                               ;   in Loop: Header=BB1_3 Depth=1
	ds_read2_b32 v[30:31], v4 offset0:45 offset1:105
	ds_read_b32 v29, v4 offset:676
	ds_read_b32 v32, v28
	s_waitcnt lgkmcnt(1)
	v_add_u32_e32 v29, v31, v29
	s_waitcnt lgkmcnt(0)
	v_add3_u32 v29, v29, v30, v32
	ds_write_b32 v4, v29 offset:896
	s_branch .LBB1_2
.LBB1_19:
	ds_read_b32 v4, v1 offset:2048
	ds_read2st64_b32 v[0:1], v1 offset1:4
	s_waitcnt lgkmcnt(1)
	global_store_dword v[2:3], v4, off offset:2048
	s_waitcnt lgkmcnt(0)
	global_store_dword v[2:3], v1, off offset:1024
	global_store_dword v[2:3], v0, off
	s_endpgm
	.section	.rodata,"a",@progbits
	.p2align	6, 0x0
	.amdhsa_kernel _Z7colYGPUPji
		.amdhsa_group_segment_fixed_size 3072
		.amdhsa_private_segment_fixed_size 0
		.amdhsa_kernarg_size 12
		.amdhsa_user_sgpr_count 6
		.amdhsa_user_sgpr_private_segment_buffer 1
		.amdhsa_user_sgpr_dispatch_ptr 0
		.amdhsa_user_sgpr_queue_ptr 0
		.amdhsa_user_sgpr_kernarg_segment_ptr 1
		.amdhsa_user_sgpr_dispatch_id 0
		.amdhsa_user_sgpr_flat_scratch_init 0
		.amdhsa_user_sgpr_kernarg_preload_length 0
		.amdhsa_user_sgpr_kernarg_preload_offset 0
		.amdhsa_user_sgpr_private_segment_size 0
		.amdhsa_uses_dynamic_stack 0
		.amdhsa_system_sgpr_private_segment_wavefront_offset 0
		.amdhsa_system_sgpr_workgroup_id_x 1
		.amdhsa_system_sgpr_workgroup_id_y 0
		.amdhsa_system_sgpr_workgroup_id_z 0
		.amdhsa_system_sgpr_workgroup_info 0
		.amdhsa_system_vgpr_workitem_id 0
		.amdhsa_next_free_vgpr 33
		.amdhsa_next_free_sgpr 6
		.amdhsa_accum_offset 36
		.amdhsa_reserve_vcc 1
		.amdhsa_reserve_flat_scratch 0
		.amdhsa_float_round_mode_32 0
		.amdhsa_float_round_mode_16_64 0
		.amdhsa_float_denorm_mode_32 3
		.amdhsa_float_denorm_mode_16_64 3
		.amdhsa_dx10_clamp 1
		.amdhsa_ieee_mode 1
		.amdhsa_fp16_overflow 0
		.amdhsa_tg_split 0
		.amdhsa_exception_fp_ieee_invalid_op 0
		.amdhsa_exception_fp_denorm_src 0
		.amdhsa_exception_fp_ieee_div_zero 0
		.amdhsa_exception_fp_ieee_overflow 0
		.amdhsa_exception_fp_ieee_underflow 0
		.amdhsa_exception_fp_ieee_inexact 0
		.amdhsa_exception_int_div_zero 0
	.end_amdhsa_kernel
	.text
.Lfunc_end1:
	.size	_Z7colYGPUPji, .Lfunc_end1-_Z7colYGPUPji
                                        ; -- End function
	.section	.AMDGPU.csdata,"",@progbits
; Kernel info:
; codeLenInByte = 1016
; NumSgprs: 10
; NumVgprs: 33
; NumAgprs: 0
; TotalNumVgprs: 33
; ScratchSize: 0
; MemoryBound: 0
; FloatMode: 240
; IeeeMode: 1
; LDSByteSize: 3072 bytes/workgroup (compile time only)
; SGPRBlocks: 1
; VGPRBlocks: 4
; NumSGPRsForWavesPerEU: 10
; NumVGPRsForWavesPerEU: 33
; AccumOffset: 36
; Occupancy: 8
; WaveLimiterHint : 1
; COMPUTE_PGM_RSRC2:SCRATCH_EN: 0
; COMPUTE_PGM_RSRC2:USER_SGPR: 6
; COMPUTE_PGM_RSRC2:TRAP_HANDLER: 0
; COMPUTE_PGM_RSRC2:TGID_X_EN: 1
; COMPUTE_PGM_RSRC2:TGID_Y_EN: 0
; COMPUTE_PGM_RSRC2:TGID_Z_EN: 0
; COMPUTE_PGM_RSRC2:TIDIG_COMP_CNT: 0
; COMPUTE_PGM_RSRC3_GFX90A:ACCUM_OFFSET: 8
; COMPUTE_PGM_RSRC3_GFX90A:TG_SPLIT: 0
	.text
	.protected	_Z10lastEntGPUPjS_ii    ; -- Begin function _Z10lastEntGPUPjS_ii
	.globl	_Z10lastEntGPUPjS_ii
	.p2align	8
	.type	_Z10lastEntGPUPjS_ii,@function
_Z10lastEntGPUPjS_ii:                   ; @_Z10lastEntGPUPjS_ii
; %bb.0:
	s_load_dwordx2 s[0:1], s[4:5], 0x8
	v_lshlrev_b32_e32 v6, 2, v0
	s_movk_i32 s2, 0x100
	v_cmp_gt_u32_e32 vcc, s2, v0
	s_waitcnt lgkmcnt(0)
	global_load_dword v1, v6, s[0:1]
	s_waitcnt vmcnt(0)
	ds_write_b32 v6, v1
	s_waitcnt lgkmcnt(0)
	s_barrier
	s_and_saveexec_b64 s[2:3], vcc
	s_cbranch_execz .LBB2_2
; %bb.1:
	v_mov_b32_e32 v1, s1
	v_add_co_u32_e64 v2, s[0:1], s0, v6
	v_addc_co_u32_e64 v3, s[0:1], 0, v1, s[0:1]
	global_load_dword v1, v[2:3], off offset:2048
	s_waitcnt vmcnt(0)
	ds_write_b32 v6, v1 offset:2048
.LBB2_2:
	s_or_b64 exec, exec, s[2:3]
	s_waitcnt lgkmcnt(0)
	s_barrier
	ds_read_b32 v1, v6 offset:1024
	s_load_dwordx2 s[2:3], s[4:5], 0x10
	s_waitcnt lgkmcnt(0)
	ds_write2st64_b32 v6, v1, v1 offset0:12 offset1:20
	ds_write_b32 v6, v1 offset:7168
	s_waitcnt lgkmcnt(0)
	s_barrier
	ds_read_b32 v1, v6 offset:716
	ds_read_b32 v2, v6 offset:3072
	s_cmp_lt_i32 s3, 2
	s_waitcnt lgkmcnt(0)
	v_add_u32_e32 v1, v2, v1
	ds_write_b32 v6, v1 offset:3072
	s_waitcnt lgkmcnt(0)
	s_barrier
	ds_read2_b32 v[2:3], v6 offset0:119 offset1:196
	ds_read_b32 v1, v6 offset:5120
	s_waitcnt lgkmcnt(0)
	v_add3_u32 v1, v2, v3, v1
	ds_write_b32 v6, v1 offset:5120
	s_waitcnt lgkmcnt(0)
	s_barrier
	ds_read2st64_b32 v[2:3], v6 offset0:3 offset1:28
	ds_read2_b32 v[4:5], v6 offset0:55 offset1:132
	s_waitcnt lgkmcnt(0)
	v_add_u32_e32 v1, v5, v2
	v_add3_u32 v1, v1, v4, v3
	ds_write_b32 v6, v1 offset:7168
	s_waitcnt lgkmcnt(0)
	s_barrier
	s_cbranch_scc1 .LBB2_11
; %bb.3:
	s_load_dwordx2 s[4:5], s[4:5], 0x0
	v_add_u32_e32 v0, s2, v0
	v_add_u32_e32 v0, 0xffffff00, v0
	;; [unrolled: 1-line block ×3, first 2 shown]
	v_ashrrev_i32_e32 v1, 31, v0
	s_waitcnt lgkmcnt(0)
	s_add_u32 s14, s4, 0xfffffc00
	s_addc_u32 s15, s5, -1
	s_add_u32 s16, s4, 0xfffffe24
	v_add_u32_e32 v8, 0x1c00, v6
	v_add_u32_e32 v9, 0x7f4, v6
	;; [unrolled: 1-line block ×3, first 2 shown]
	s_addc_u32 s17, s5, -1
	s_mov_b32 s18, 1
	v_mov_b32_e32 v11, 0
	v_add_u32_e32 v12, 0x3fc, v7
	v_lshlrev_b64 v[0:1], 2, v[0:1]
	s_mov_b32 s6, s2
	s_branch .LBB2_5
.LBB2_4:                                ;   in Loop: Header=BB2_5 Depth=1
	s_or_b64 exec, exec, s[8:9]
	s_add_i32 s18, s18, 1
	s_add_i32 s6, s6, s2
	s_cmp_eq_u32 s18, s3
	s_barrier
	s_cbranch_scc1 .LBB2_11
.LBB2_5:                                ; =>This Loop Header: Depth=1
                                        ;     Child Loop BB2_7 Depth 2
                                        ;     Child Loop BB2_9 Depth 2
	s_and_saveexec_b64 s[8:9], vcc
	s_cbranch_execz .LBB2_4
; %bb.6:                                ;   in Loop: Header=BB2_5 Depth=1
	s_ashr_i32 s7, s6, 31
	s_lshl_b64 s[10:11], s[6:7], 2
	s_add_u32 s12, s14, s10
	s_mul_i32 s0, s18, s2
	s_addc_u32 s13, s15, s11
	s_ashr_i32 s1, s0, 31
	s_lshl_b64 s[0:1], s[0:1], 2
	s_add_u32 s0, s4, s0
	s_addc_u32 s1, s5, s1
	s_mov_b32 s7, 0
	v_mov_b32_e32 v2, 0
	v_mov_b32_e32 v4, v9
	;; [unrolled: 1-line block ×3, first 2 shown]
.LBB2_7:                                ;   Parent Loop BB2_5 Depth=1
                                        ; =>  This Inner Loop Header: Depth=2
	s_or_b32 s20, s7, 0xffffff02
	s_ashr_i32 s21, s20, 31
	s_lshl_b64 s[20:21], s[20:21], 2
	s_add_u32 s20, s0, s20
	s_addc_u32 s21, s1, s21
	global_load_dwordx2 v[14:15], v11, s[12:13]
	global_load_dwordx2 v[16:17], v11, s[20:21]
	ds_read2_b32 v[18:19], v4 offset0:2 offset1:3
	ds_read2_b32 v[20:21], v4 offset1:1
	s_add_i32 s7, s7, 4
	s_add_u32 s12, s12, 16
	s_addc_u32 s13, s13, 0
	v_add_u32_e32 v4, -16, v4
	s_cmpk_lg_i32 s7, 0x4c
	s_waitcnt vmcnt(1) lgkmcnt(1)
	v_mul_lo_u32 v5, v19, v14
	v_mul_lo_u32 v13, v18, v15
	s_waitcnt vmcnt(0) lgkmcnt(0)
	v_mul_lo_u32 v14, v21, v16
	v_mul_lo_u32 v15, v20, v17
	v_add3_u32 v3, v13, v3, v15
	v_add3_u32 v2, v5, v2, v14
	s_cbranch_scc1 .LBB2_7
; %bb.8:                                ;   in Loop: Header=BB2_5 Depth=1
	ds_read_b32 v4, v6 offset:1744
	global_load_dwordx3 v[26:28], v11, s[0:1] offset:-672
	global_load_dwordx4 v[14:17], v11, s[0:1] offset:-704
	global_load_dwordx4 v[18:21], v11, s[0:1] offset:-720
	;; [unrolled: 1-line block ×3, first 2 shown]
	v_add_u32_e32 v5, v2, v3
	ds_read2_b32 v[2:3], v12 offset1:1
	s_add_u32 s10, s16, s10
	s_addc_u32 s11, s17, s11
	s_mov_b32 s7, 0
	v_mov_b32_e32 v41, 0
	s_waitcnt vmcnt(1) lgkmcnt(1)
	v_mul_lo_u32 v4, v4, v18
	s_waitcnt lgkmcnt(0)
	v_mul_lo_u32 v3, v3, v19
	v_add3_u32 v13, v4, v5, v3
	ds_read2_b32 v[4:5], v7 offset0:253 offset1:254
	v_mul_lo_u32 v2, v2, v20
	s_waitcnt lgkmcnt(0)
	v_mul_lo_u32 v18, v5, v21
	v_mad_u64_u32 v[2:3], s[12:13], v4, v14, v[2:3]
	ds_read2_b32 v[4:5], v7 offset0:251 offset1:252
	s_waitcnt lgkmcnt(0)
	v_mul_lo_u32 v3, v4, v16
	v_mul_lo_u32 v4, v5, v15
	v_add3_u32 v13, v18, v13, v4
	ds_read2_b32 v[4:5], v7 offset0:249 offset1:250
	s_waitcnt vmcnt(0) lgkmcnt(0)
	v_mul_lo_u32 v4, v4, v22
	v_add3_u32 v4, v3, v2, v4
	ds_read2_b32 v[2:3], v7 offset0:247 offset1:248
	v_mul_lo_u32 v5, v5, v17
	s_waitcnt lgkmcnt(0)
	v_mul_lo_u32 v14, v2, v24
	v_mul_lo_u32 v2, v3, v23
	v_add3_u32 v5, v5, v13, v2
	ds_read2_b32 v[2:3], v7 offset0:245 offset1:246
	s_waitcnt lgkmcnt(0)
	v_mul_lo_u32 v2, v2, v26
	v_mul_lo_u32 v13, v3, v25
	v_add3_u32 v29, v14, v4, v2
	ds_read2_b32 v[2:3], v7 offset0:243 offset1:244
	s_waitcnt lgkmcnt(0)
	v_mul_lo_u32 v28, v2, v28
	v_mul_lo_u32 v2, v3, v27
	v_add3_u32 v13, v13, v5, v2
	global_load_dwordx4 v[2:5], v11, s[0:1] offset:-612
	global_load_dwordx4 v[14:17], v11, s[0:1] offset:-628
	;; [unrolled: 1-line block ×4, first 2 shown]
	ds_read2_b32 v[26:27], v7 offset0:241 offset1:242
	s_waitcnt vmcnt(0) lgkmcnt(0)
	v_mul_lo_u32 v27, v27, v22
	v_mul_lo_u32 v22, v26, v23
	v_add3_u32 v26, v28, v29, v22
	ds_read2_b32 v[22:23], v7 offset0:239 offset1:240
	s_waitcnt lgkmcnt(0)
	v_mul_lo_u32 v25, v22, v25
	v_mul_lo_u32 v22, v23, v24
	v_add3_u32 v13, v27, v13, v22
	ds_read2_b32 v[22:23], v7 offset0:237 offset1:238
	s_waitcnt lgkmcnt(0)
	;; [unrolled: 5-line block ×7, first 2 shown]
	v_mul_lo_u32 v29, v2, v5
	v_mul_lo_u32 v2, v3, v4
	v_add3_u32 v13, v15, v13, v2
	global_load_dwordx4 v[2:5], v11, s[0:1] offset:-548
	global_load_dwordx4 v[14:17], v11, s[0:1] offset:-564
	global_load_dwordx4 v[18:21], v11, s[0:1] offset:-580
	global_load_dwordx4 v[22:25], v11, s[0:1] offset:-596
	ds_read2_b32 v[26:27], v7 offset0:225 offset1:226
	s_waitcnt vmcnt(0) lgkmcnt(0)
	v_mul_lo_u32 v27, v27, v22
	v_mul_lo_u32 v22, v26, v23
	v_add3_u32 v26, v29, v28, v22
	ds_read2_b32 v[22:23], v7 offset0:223 offset1:224
	s_waitcnt lgkmcnt(0)
	v_mul_lo_u32 v25, v22, v25
	v_mul_lo_u32 v22, v23, v24
	v_add3_u32 v13, v27, v13, v22
	ds_read2_b32 v[22:23], v7 offset0:221 offset1:222
	s_waitcnt lgkmcnt(0)
	;; [unrolled: 5-line block ×7, first 2 shown]
	v_mul_lo_u32 v27, v2, v5
	v_mul_lo_u32 v2, v3, v4
	v_add3_u32 v13, v15, v13, v2
	global_load_dwordx2 v[2:3], v11, s[0:1] offset:-484
	global_load_dwordx4 v[14:17], v11, s[0:1] offset:-500
	global_load_dwordx4 v[18:21], v11, s[0:1] offset:-516
	;; [unrolled: 1-line block ×3, first 2 shown]
	ds_read2_b32 v[4:5], v7 offset0:209 offset1:210
	s_waitcnt vmcnt(0) lgkmcnt(0)
	v_mul_lo_u32 v4, v4, v23
	v_mul_lo_u32 v22, v5, v22
	v_add3_u32 v23, v27, v26, v4
	ds_read2_b32 v[4:5], v7 offset0:207 offset1:208
	s_waitcnt lgkmcnt(0)
	v_mul_lo_u32 v25, v4, v25
	v_mul_lo_u32 v4, v5, v24
	v_add3_u32 v13, v22, v13, v4
	ds_read2_b32 v[4:5], v7 offset0:205 offset1:206
	s_waitcnt lgkmcnt(0)
	;; [unrolled: 5-line block ×6, first 2 shown]
	v_mul_lo_u32 v3, v4, v3
	v_mul_lo_u32 v2, v5, v2
	v_add3_u32 v3, v14, v13, v3
	v_add3_u32 v40, v2, v15, v3
.LBB2_9:                                ;   Parent Loop BB2_5 Depth=1
                                        ; =>  This Inner Loop Header: Depth=2
	global_load_dwordx4 v[2:5], v11, s[10:11]
	global_load_dwordx4 v[14:17], v11, s[10:11] offset:16
	global_load_dwordx4 v[18:21], v11, s[10:11] offset:32
	;; [unrolled: 1-line block ×3, first 2 shown]
	v_add_u32_e32 v13, s7, v10
	ds_read2_b32 v[26:27], v13 offset0:14 offset1:15
	ds_read2_b32 v[28:29], v13 offset0:12 offset1:13
	;; [unrolled: 1-line block ×7, first 2 shown]
	ds_read2_b32 v[42:43], v13 offset1:1
	s_sub_i32 s7, s7, 64
	s_add_u32 s10, s10, 64
	s_addc_u32 s11, s11, 0
	s_cmpk_lg_i32 s7, 0xff00
	s_waitcnt vmcnt(3) lgkmcnt(7)
	v_mul_lo_u32 v3, v26, v3
	v_mul_lo_u32 v2, v27, v2
	s_waitcnt lgkmcnt(6)
	v_mul_lo_u32 v5, v28, v5
	v_mul_lo_u32 v4, v29, v4
	s_waitcnt vmcnt(2) lgkmcnt(5)
	v_mul_lo_u32 v13, v31, v14
	v_mul_lo_u32 v14, v30, v15
	s_waitcnt lgkmcnt(4)
	v_mul_lo_u32 v15, v33, v16
	v_mul_lo_u32 v16, v32, v17
	v_add3_u32 v2, v2, v40, v4
	v_add3_u32 v3, v3, v41, v5
	s_waitcnt vmcnt(1) lgkmcnt(3)
	v_mul_lo_u32 v17, v34, v19
	v_mul_lo_u32 v18, v35, v18
	s_waitcnt lgkmcnt(2)
	v_mul_lo_u32 v19, v36, v21
	v_mul_lo_u32 v20, v37, v20
	v_add3_u32 v3, v14, v3, v16
	v_add3_u32 v2, v13, v2, v15
	;; [unrolled: 8-line block ×3, first 2 shown]
	v_add3_u32 v41, v22, v3, v24
	v_add3_u32 v40, v21, v2, v23
	s_cbranch_scc1 .LBB2_9
; %bb.10:                               ;   in Loop: Header=BB2_5 Depth=1
	global_load_dwordx4 v[14:17], v11, s[0:1] offset:-28
	global_load_dwordx4 v[18:21], v11, s[0:1] offset:-44
	;; [unrolled: 1-line block ×10, first 2 shown]
	ds_read2_b32 v[4:5], v8 offset0:205 offset1:206
	ds_read2_b32 v[38:39], v8 offset0:207 offset1:208
	;; [unrolled: 1-line block ×3, first 2 shown]
	s_waitcnt vmcnt(9) lgkmcnt(2)
	v_mul_lo_u32 v2, v5, v16
	v_mul_lo_u32 v3, v4, v17
	s_waitcnt lgkmcnt(1)
	v_mul_lo_u32 v4, v38, v15
	v_mul_lo_u32 v5, v39, v14
	ds_read2_b32 v[16:17], v8 offset0:211 offset1:212
	ds_read2_b32 v[38:39], v8 offset0:213 offset1:214
	s_waitcnt vmcnt(8) lgkmcnt(2)
	v_mul_lo_u32 v13, v58, v21
	v_mul_lo_u32 v14, v59, v20
	ds_read2_b32 v[20:21], v8 offset0:215 offset1:216
	ds_read2_b32 v[58:59], v8 offset0:217 offset1:218
	s_waitcnt lgkmcnt(3)
	v_mul_lo_u32 v15, v17, v18
	s_waitcnt vmcnt(7) lgkmcnt(2)
	v_mul_lo_u32 v17, v39, v24
	v_mul_lo_u32 v18, v38, v25
	ds_read2_b32 v[24:25], v8 offset0:219 offset1:220
	ds_read2_b32 v[38:39], v8 offset0:221 offset1:222
	v_mul_lo_u32 v16, v16, v19
	s_waitcnt lgkmcnt(3)
	v_mul_lo_u32 v19, v20, v23
	v_mul_lo_u32 v20, v21, v22
	s_waitcnt vmcnt(6) lgkmcnt(2)
	v_mul_lo_u32 v21, v58, v29
	v_mul_lo_u32 v22, v59, v28
	ds_read2_b32 v[28:29], v8 offset0:223 offset1:224
	ds_read2_b32 v[58:59], v8 offset0:225 offset1:226
	s_waitcnt lgkmcnt(3)
	v_mul_lo_u32 v23, v25, v26
	s_waitcnt vmcnt(5) lgkmcnt(2)
	v_mul_lo_u32 v25, v39, v32
	v_mul_lo_u32 v26, v38, v33
	ds_read2_b32 v[32:33], v8 offset0:227 offset1:228
	ds_read2_b32 v[38:39], v8 offset0:229 offset1:230
	v_mul_lo_u32 v24, v24, v27
	s_waitcnt lgkmcnt(3)
	v_mul_lo_u32 v27, v28, v31
	v_mul_lo_u32 v28, v29, v30
	s_waitcnt vmcnt(4) lgkmcnt(2)
	v_mul_lo_u32 v29, v58, v37
	v_mul_lo_u32 v30, v59, v36
	ds_read2_b32 v[36:37], v8 offset0:231 offset1:232
	ds_read2_b32 v[58:59], v8 offset0:233 offset1:234
	s_waitcnt lgkmcnt(3)
	v_mul_lo_u32 v31, v33, v34
	v_mul_lo_u32 v32, v32, v35
	s_waitcnt vmcnt(3) lgkmcnt(2)
	v_mul_lo_u32 v33, v39, v44
	v_mul_lo_u32 v34, v38, v45
	s_waitcnt lgkmcnt(1)
	v_mul_lo_u32 v35, v36, v43
	v_mul_lo_u32 v36, v37, v42
	ds_read2_b32 v[42:43], v8 offset0:235 offset1:236
	ds_read2_b32 v[44:45], v8 offset0:237 offset1:238
	s_waitcnt vmcnt(2) lgkmcnt(2)
	v_mul_lo_u32 v37, v58, v49
	v_mul_lo_u32 v38, v59, v48
	s_waitcnt lgkmcnt(1)
	v_mul_lo_u32 v39, v43, v46
	v_mul_lo_u32 v42, v42, v47
	ds_read2_b32 v[46:47], v8 offset0:239 offset1:240
	ds_read2_b32 v[48:49], v8 offset0:241 offset1:242
	;; [unrolled: 8-line block ×3, first 2 shown]
	s_waitcnt vmcnt(0) lgkmcnt(2)
	v_mul_lo_u32 v53, v48, v57
	v_mul_lo_u32 v56, v49, v56
	s_waitcnt lgkmcnt(1)
	v_mul_lo_u32 v54, v47, v54
	v_mul_lo_u32 v55, v46, v55
	global_load_dwordx4 v[46:49], v11, s[0:1] offset:-188
	s_waitcnt vmcnt(0) lgkmcnt(0)
	v_mul_lo_u32 v57, v51, v48
	v_mul_lo_u32 v58, v50, v49
	ds_read2_b32 v[48:49], v8 offset0:247 offset1:248
	ds_read2_b32 v[50:51], v8 offset0:249 offset1:250
	s_waitcnt lgkmcnt(1)
	v_mul_lo_u32 v59, v48, v47
	v_mul_lo_u32 v60, v49, v46
	global_load_dwordx4 v[46:49], v11, s[0:1] offset:-204
	s_waitcnt vmcnt(0) lgkmcnt(0)
	v_mul_lo_u32 v61, v50, v49
	v_mul_lo_u32 v62, v51, v48
	ds_read2_b32 v[48:49], v8 offset0:251 offset1:252
	ds_read2_b32 v[50:51], v8 offset0:253 offset1:254
	s_waitcnt lgkmcnt(1)
	v_mul_lo_u32 v63, v49, v46
	v_mul_lo_u32 v64, v48, v47
	global_load_dwordx4 v[46:49], v11, s[0:1] offset:-220
	s_waitcnt vmcnt(0) lgkmcnt(0)
	v_mul_lo_u32 v51, v51, v48
	v_add_u32_e32 v48, 0x3fc, v8
	v_mul_lo_u32 v50, v50, v49
	ds_read2_b32 v[48:49], v48 offset1:1
	s_waitcnt lgkmcnt(0)
	v_mul_lo_u32 v47, v48, v47
	v_mul_lo_u32 v46, v49, v46
	v_add3_u32 v40, v40, v41, v46
	v_add3_u32 v41, v47, v50, v64
	global_load_dwordx3 v[46:48], v11, s[0:1] offset:-12
	v_add3_u32 v40, v51, v40, v63
	v_add3_u32 v49, v62, v40, v60
	;; [unrolled: 1-line block ×3, first 2 shown]
	ds_read2_b32 v[40:41], v8 offset0:203 offset1:204
	ds_read_b32 v51, v8 offset:808
	v_add3_u32 v50, v58, v50, v55
	v_add3_u32 v45, v53, v50, v45
	;; [unrolled: 1-line block ×10, first 2 shown]
	s_waitcnt vmcnt(0) lgkmcnt(1)
	v_mul_lo_u32 v41, v41, v46
	v_add3_u32 v46, v57, v49, v54
	v_add3_u32 v46, v56, v46, v52
	;; [unrolled: 1-line block ×9, first 2 shown]
	v_mul_lo_u32 v40, v40, v47
	v_add3_u32 v5, v14, v15, v5
	v_add3_u32 v3, v3, v4, v40
	;; [unrolled: 1-line block ×3, first 2 shown]
	s_waitcnt lgkmcnt(0)
	v_mul_lo_u32 v4, v51, v48
	v_add3_u32 v4, v2, v3, v4
	v_mov_b32_e32 v3, s1
	v_add_co_u32_e64 v2, s[0:1], s0, v0
	v_addc_co_u32_e64 v3, s[0:1], v3, v1, s[0:1]
	global_store_dword v[2:3], v4, off
	s_branch .LBB2_4
.LBB2_11:
	s_endpgm
	.section	.rodata,"a",@progbits
	.p2align	6, 0x0
	.amdhsa_kernel _Z10lastEntGPUPjS_ii
		.amdhsa_group_segment_fixed_size 9216
		.amdhsa_private_segment_fixed_size 0
		.amdhsa_kernarg_size 24
		.amdhsa_user_sgpr_count 6
		.amdhsa_user_sgpr_private_segment_buffer 1
		.amdhsa_user_sgpr_dispatch_ptr 0
		.amdhsa_user_sgpr_queue_ptr 0
		.amdhsa_user_sgpr_kernarg_segment_ptr 1
		.amdhsa_user_sgpr_dispatch_id 0
		.amdhsa_user_sgpr_flat_scratch_init 0
		.amdhsa_user_sgpr_kernarg_preload_length 0
		.amdhsa_user_sgpr_kernarg_preload_offset 0
		.amdhsa_user_sgpr_private_segment_size 0
		.amdhsa_uses_dynamic_stack 0
		.amdhsa_system_sgpr_private_segment_wavefront_offset 0
		.amdhsa_system_sgpr_workgroup_id_x 1
		.amdhsa_system_sgpr_workgroup_id_y 0
		.amdhsa_system_sgpr_workgroup_id_z 0
		.amdhsa_system_sgpr_workgroup_info 0
		.amdhsa_system_vgpr_workitem_id 0
		.amdhsa_next_free_vgpr 65
		.amdhsa_next_free_sgpr 22
		.amdhsa_accum_offset 68
		.amdhsa_reserve_vcc 1
		.amdhsa_reserve_flat_scratch 0
		.amdhsa_float_round_mode_32 0
		.amdhsa_float_round_mode_16_64 0
		.amdhsa_float_denorm_mode_32 3
		.amdhsa_float_denorm_mode_16_64 3
		.amdhsa_dx10_clamp 1
		.amdhsa_ieee_mode 1
		.amdhsa_fp16_overflow 0
		.amdhsa_tg_split 0
		.amdhsa_exception_fp_ieee_invalid_op 0
		.amdhsa_exception_fp_denorm_src 0
		.amdhsa_exception_fp_ieee_div_zero 0
		.amdhsa_exception_fp_ieee_overflow 0
		.amdhsa_exception_fp_ieee_underflow 0
		.amdhsa_exception_fp_ieee_inexact 0
		.amdhsa_exception_int_div_zero 0
	.end_amdhsa_kernel
	.text
.Lfunc_end2:
	.size	_Z10lastEntGPUPjS_ii, .Lfunc_end2-_Z10lastEntGPUPjS_ii
                                        ; -- End function
	.section	.AMDGPU.csdata,"",@progbits
; Kernel info:
; codeLenInByte = 3380
; NumSgprs: 26
; NumVgprs: 65
; NumAgprs: 0
; TotalNumVgprs: 65
; ScratchSize: 0
; MemoryBound: 0
; FloatMode: 240
; IeeeMode: 1
; LDSByteSize: 9216 bytes/workgroup (compile time only)
; SGPRBlocks: 3
; VGPRBlocks: 8
; NumSGPRsForWavesPerEU: 26
; NumVGPRsForWavesPerEU: 65
; AccumOffset: 68
; Occupancy: 7
; WaveLimiterHint : 0
; COMPUTE_PGM_RSRC2:SCRATCH_EN: 0
; COMPUTE_PGM_RSRC2:USER_SGPR: 6
; COMPUTE_PGM_RSRC2:TRAP_HANDLER: 0
; COMPUTE_PGM_RSRC2:TGID_X_EN: 1
; COMPUTE_PGM_RSRC2:TGID_Y_EN: 0
; COMPUTE_PGM_RSRC2:TGID_Z_EN: 0
; COMPUTE_PGM_RSRC2:TIDIG_COMP_CNT: 0
; COMPUTE_PGM_RSRC3_GFX90A:ACCUM_OFFSET: 16
; COMPUTE_PGM_RSRC3_GFX90A:TG_SPLIT: 0
	.text
	.protected	_Z7colsGPUPjii          ; -- Begin function _Z7colsGPUPjii
	.globl	_Z7colsGPUPjii
	.p2align	8
	.type	_Z7colsGPUPjii,@function
_Z7colsGPUPjii:                         ; @_Z7colsGPUPjii
; %bb.0:
	s_load_dword s0, s[4:5], 0x10
	s_load_dwordx2 s[8:9], s[4:5], 0x8
	s_mov_b32 s12, 8
	s_waitcnt lgkmcnt(0)
	s_add_i32 s0, s0, -1
	s_cmp_eq_u32 s6, s0
	s_cselect_b64 s[10:11], -1, 0
	s_cmp_lg_u32 s6, s0
	s_cbranch_scc1 .LBB3_2
; %bb.1:
	s_ashr_i32 s0, s9, 31
	s_lshr_b32 s0, s0, 29
	s_add_i32 s0, s9, s0
	s_and_b32 s0, s0, -8
	s_sub_i32 s0, s9, s0
	s_cmp_lg_u32 s0, 0
	s_cselect_b32 s12, s0, 8
.LBB3_2:
	s_lshl_b32 s7, s6, 3
	s_load_dwordx2 s[4:5], s[4:5], 0x0
	s_cmp_eq_u32 s6, 0
	s_cselect_b64 s[0:1], -1, 0
	v_cndmask_b32_e64 v4, 0, 1, s[0:1]
	v_cmp_le_i32_e32 vcc, s12, v4
	v_readfirstlane_b32 s9, v4
	v_lshlrev_b32_e32 v1, 2, v0
	s_cbranch_vccnz .LBB3_5
; %bb.3:
	s_add_i32 s0, s7, s9
	s_mul_i32 s0, s8, s0
	v_add_u32_e32 v2, s0, v0
	v_add_u32_e32 v2, 0xffffff00, v2
	v_lshl_add_u32 v5, s9, 11, v1
	v_mov_b32_e32 v3, 0
	s_waitcnt lgkmcnt(0)
	v_mov_b32_e32 v6, s5
	s_mov_b32 s0, s9
.LBB3_4:                                ; =>This Inner Loop Header: Depth=1
	v_lshlrev_b64 v[8:9], 2, v[2:3]
	v_add_co_u32_e32 v8, vcc, s4, v8
	v_addc_co_u32_e32 v9, vcc, v6, v9, vcc
	global_load_dword v7, v[8:9], off
	s_add_i32 s0, s0, 1
	v_add_u32_e32 v2, s8, v2
	s_cmp_ge_i32 s0, s12
	s_waitcnt vmcnt(0)
	ds_write_b32 v5, v7
	v_add_u32_e32 v5, 0x800, v5
	s_cbranch_scc0 .LBB3_4
.LBB3_5:
	s_cmpk_lt_i32 s8, 0x200
	s_waitcnt lgkmcnt(0)
	s_barrier
	s_cbranch_scc1 .LBB3_26
; %bb.6:
	v_lshrrev_b32_e32 v2, 5, v0
	v_cmp_gt_i32_e64 s[0:1], s12, v4
	v_and_b32_e32 v3, 31, v0
	v_lshlrev_b32_e32 v27, 11, v2
	v_or_b32_e32 v4, s6, v0
	v_cmp_gt_i32_e64 s[2:3], s12, v2
	s_xor_b64 s[10:11], s[10:11], -1
	s_add_i32 s7, s7, s9
	s_lshr_b32 s14, s8, 8
	v_cmp_ne_u32_e32 vcc, 0, v4
	s_or_b64 s[2:3], s[10:11], s[2:3]
	v_lshl_or_b32 v2, v3, 2, v27
	v_or_b32_e32 v28, 0xffffff80, v1
	s_mul_i32 s6, s8, s7
	s_mov_b32 s13, 0
	s_and_b64 s[2:3], vcc, s[2:3]
	v_or_b32_e32 v3, 0x400, v2
	v_or_b32_e32 v4, 0x480, v2
	v_add_u32_e32 v5, 0x3a4, v2
	v_add_u32_e32 v6, 0x2a4, v2
	;; [unrolled: 1-line block ×3, first 2 shown]
	v_or_b32_e32 v8, 0x80, v2
	v_or_b32_e32 v9, 0x500, v2
	v_add_u32_e32 v10, 0x424, v2
	v_add_u32_e32 v11, 0x324, v2
	;; [unrolled: 1-line block ×3, first 2 shown]
	v_or_b32_e32 v13, 0x100, v2
	v_or_b32_e32 v14, 0x580, v2
	v_add_u32_e32 v15, 0x4a4, v2
	v_add_u32_e32 v16, 0x2b4, v2
	v_or_b32_e32 v17, 0x180, v2
	v_or_b32_e32 v18, 0x600, v2
	v_add_u32_e32 v19, 0x524, v2
	v_add_u32_e32 v20, 0x334, v2
	;; [unrolled: 4-line block ×3, first 2 shown]
	v_or_b32_e32 v25, 0x280, v2
	v_or_b32_e32 v26, 0x300, v2
	v_add_u32_e32 v27, v27, v28
	s_add_i32 s10, s14, -2
	v_lshl_add_u32 v28, s9, 11, v1
	v_add_u32_e32 v29, s6, v0
	v_mov_b32_e32 v1, 0
	s_branch .LBB3_8
.LBB3_7:                                ;   in Loop: Header=BB3_8 Depth=1
	s_add_i32 s6, s13, 1
	v_add_u32_e32 v29, 0x100, v29
	s_cmp_eq_u32 s13, s10
	s_mov_b32 s13, s6
	s_waitcnt lgkmcnt(0)
	s_barrier
	s_cbranch_scc1 .LBB3_26
.LBB3_8:                                ; =>This Loop Header: Depth=1
                                        ;     Child Loop BB3_25 Depth 2
	s_and_saveexec_b64 s[6:7], s[2:3]
	s_cbranch_execz .LBB3_10
; %bb.9:                                ;   in Loop: Header=BB3_8 Depth=1
	ds_read2_b32 v[30:31], v2 offset0:137 offset1:201
	ds_read2_b32 v[32:33], v2 offset1:77
	s_waitcnt lgkmcnt(1)
	v_add_u32_e32 v0, v30, v31
	s_waitcnt lgkmcnt(0)
	v_add3_u32 v0, v0, v33, v32
	ds_write_b32 v2, v0 offset:1024
.LBB3_10:                               ;   in Loop: Header=BB3_8 Depth=1
	s_or_b64 exec, exec, s[6:7]
	s_waitcnt lgkmcnt(0)
	s_barrier
	s_and_saveexec_b64 s[6:7], s[2:3]
	s_cbranch_execz .LBB3_12
; %bb.11:                               ;   in Loop: Header=BB3_8 Depth=1
	ds_read_b32 v0, v6
	ds_read_b32 v30, v7
	ds_read_b32 v31, v5
	ds_read_b32 v32, v8
	s_waitcnt lgkmcnt(1)
	v_add_u32_e32 v0, v0, v31
	s_waitcnt lgkmcnt(0)
	v_add3_u32 v0, v0, v30, v32
	ds_write_b32 v4, v0
.LBB3_12:                               ;   in Loop: Header=BB3_8 Depth=1
	s_or_b64 exec, exec, s[6:7]
	s_waitcnt lgkmcnt(0)
	s_barrier
	s_and_saveexec_b64 s[6:7], s[2:3]
	s_cbranch_execz .LBB3_14
; %bb.13:                               ;   in Loop: Header=BB3_8 Depth=1
	ds_read_b32 v0, v11
	ds_read_b32 v30, v12
	ds_read_b32 v31, v10
	ds_read_b32 v32, v13
	s_waitcnt lgkmcnt(1)
	v_add_u32_e32 v0, v0, v31
	s_waitcnt lgkmcnt(0)
	v_add3_u32 v0, v0, v30, v32
	ds_write_b32 v9, v0
.LBB3_14:                               ;   in Loop: Header=BB3_8 Depth=1
	;; [unrolled: 16-line block ×5, first 2 shown]
	s_or_b64 exec, exec, s[6:7]
	s_waitcnt lgkmcnt(0)
	s_barrier
	s_and_saveexec_b64 s[6:7], s[2:3]
	s_cbranch_execz .LBB3_22
; %bb.21:                               ;   in Loop: Header=BB3_8 Depth=1
	ds_read2_b32 v[30:31], v3 offset0:13 offset1:73
	ds_read_b32 v0, v3 offset:548
	ds_read_b32 v32, v26
	s_waitcnt lgkmcnt(1)
	v_add_u32_e32 v0, v31, v0
	s_waitcnt lgkmcnt(0)
	v_add3_u32 v0, v0, v30, v32
	ds_write_b32 v3, v0 offset:768
.LBB3_22:                               ;   in Loop: Header=BB3_8 Depth=1
	s_or_b64 exec, exec, s[6:7]
	s_waitcnt lgkmcnt(0)
	s_barrier
	s_and_saveexec_b64 s[6:7], s[2:3]
	s_cbranch_execz .LBB3_24
; %bb.23:                               ;   in Loop: Header=BB3_8 Depth=1
	ds_read2_b32 v[30:31], v3 offset0:45 offset1:105
	ds_read_b32 v0, v3 offset:676
	ds_read_b32 v32, v27 offset:1024
	s_waitcnt lgkmcnt(1)
	v_add_u32_e32 v0, v31, v0
	s_waitcnt lgkmcnt(0)
	v_add3_u32 v0, v0, v30, v32
	ds_write_b32 v3, v0 offset:896
.LBB3_24:                               ;   in Loop: Header=BB3_8 Depth=1
	s_or_b64 exec, exec, s[6:7]
	s_and_b64 vcc, exec, s[0:1]
	v_mov_b32_e32 v0, v29
	v_mov_b32_e32 v30, v28
	s_mov_b32 s6, s9
	s_waitcnt lgkmcnt(0)
	s_barrier
	s_cbranch_vccz .LBB3_7
.LBB3_25:                               ;   Parent Loop BB3_8 Depth=1
                                        ; =>  This Inner Loop Header: Depth=2
	ds_read_b32 v31, v30 offset:1024
	v_lshlrev_b64 v[32:33], 2, v[0:1]
	v_mov_b32_e32 v34, s5
	v_add_co_u32_e32 v32, vcc, s4, v32
	s_add_i32 s6, s6, 1
	s_waitcnt lgkmcnt(0)
	ds_write_b32 v30, v31
	v_addc_co_u32_e32 v33, vcc, v34, v33, vcc
	v_add_u32_e32 v30, 0x800, v30
	s_cmp_ge_i32 s6, s12
	v_add_u32_e32 v0, s8, v0
	global_store_dword v[32:33], v31, off
	s_cbranch_scc0 .LBB3_25
	s_branch .LBB3_7
.LBB3_26:
	s_endpgm
	.section	.rodata,"a",@progbits
	.p2align	6, 0x0
	.amdhsa_kernel _Z7colsGPUPjii
		.amdhsa_group_segment_fixed_size 16384
		.amdhsa_private_segment_fixed_size 0
		.amdhsa_kernarg_size 272
		.amdhsa_user_sgpr_count 6
		.amdhsa_user_sgpr_private_segment_buffer 1
		.amdhsa_user_sgpr_dispatch_ptr 0
		.amdhsa_user_sgpr_queue_ptr 0
		.amdhsa_user_sgpr_kernarg_segment_ptr 1
		.amdhsa_user_sgpr_dispatch_id 0
		.amdhsa_user_sgpr_flat_scratch_init 0
		.amdhsa_user_sgpr_kernarg_preload_length 0
		.amdhsa_user_sgpr_kernarg_preload_offset 0
		.amdhsa_user_sgpr_private_segment_size 0
		.amdhsa_uses_dynamic_stack 0
		.amdhsa_system_sgpr_private_segment_wavefront_offset 0
		.amdhsa_system_sgpr_workgroup_id_x 1
		.amdhsa_system_sgpr_workgroup_id_y 0
		.amdhsa_system_sgpr_workgroup_id_z 0
		.amdhsa_system_sgpr_workgroup_info 0
		.amdhsa_system_vgpr_workitem_id 0
		.amdhsa_next_free_vgpr 35
		.amdhsa_next_free_sgpr 15
		.amdhsa_accum_offset 36
		.amdhsa_reserve_vcc 1
		.amdhsa_reserve_flat_scratch 0
		.amdhsa_float_round_mode_32 0
		.amdhsa_float_round_mode_16_64 0
		.amdhsa_float_denorm_mode_32 3
		.amdhsa_float_denorm_mode_16_64 3
		.amdhsa_dx10_clamp 1
		.amdhsa_ieee_mode 1
		.amdhsa_fp16_overflow 0
		.amdhsa_tg_split 0
		.amdhsa_exception_fp_ieee_invalid_op 0
		.amdhsa_exception_fp_denorm_src 0
		.amdhsa_exception_fp_ieee_div_zero 0
		.amdhsa_exception_fp_ieee_overflow 0
		.amdhsa_exception_fp_ieee_underflow 0
		.amdhsa_exception_fp_ieee_inexact 0
		.amdhsa_exception_int_div_zero 0
	.end_amdhsa_kernel
	.text
.Lfunc_end3:
	.size	_Z7colsGPUPjii, .Lfunc_end3-_Z7colsGPUPjii
                                        ; -- End function
	.section	.AMDGPU.csdata,"",@progbits
; Kernel info:
; codeLenInByte = 1276
; NumSgprs: 19
; NumVgprs: 35
; NumAgprs: 0
; TotalNumVgprs: 35
; ScratchSize: 0
; MemoryBound: 0
; FloatMode: 240
; IeeeMode: 1
; LDSByteSize: 16384 bytes/workgroup (compile time only)
; SGPRBlocks: 2
; VGPRBlocks: 4
; NumSGPRsForWavesPerEU: 19
; NumVGPRsForWavesPerEU: 35
; AccumOffset: 36
; Occupancy: 8
; WaveLimiterHint : 0
; COMPUTE_PGM_RSRC2:SCRATCH_EN: 0
; COMPUTE_PGM_RSRC2:USER_SGPR: 6
; COMPUTE_PGM_RSRC2:TRAP_HANDLER: 0
; COMPUTE_PGM_RSRC2:TGID_X_EN: 1
; COMPUTE_PGM_RSRC2:TGID_Y_EN: 0
; COMPUTE_PGM_RSRC2:TGID_Z_EN: 0
; COMPUTE_PGM_RSRC2:TIDIG_COMP_CNT: 0
; COMPUTE_PGM_RSRC3_GFX90A:ACCUM_OFFSET: 8
; COMPUTE_PGM_RSRC3_GFX90A:TG_SPLIT: 0
	.text
	.p2alignl 6, 3212836864
	.fill 256, 4, 3212836864
	.type	__hip_cuid_f67b7becfe05b288,@object ; @__hip_cuid_f67b7becfe05b288
	.section	.bss,"aw",@nobits
	.globl	__hip_cuid_f67b7becfe05b288
__hip_cuid_f67b7becfe05b288:
	.byte	0                               ; 0x0
	.size	__hip_cuid_f67b7becfe05b288, 1

	.ident	"AMD clang version 19.0.0git (https://github.com/RadeonOpenCompute/llvm-project roc-6.4.0 25133 c7fe45cf4b819c5991fe208aaa96edf142730f1d)"
	.section	".note.GNU-stack","",@progbits
	.addrsig
	.addrsig_sym __hip_cuid_f67b7becfe05b288
	.amdgpu_metadata
---
amdhsa.kernels:
  - .agpr_count:     0
    .args:
      - .address_space:  global
        .offset:         0
        .size:           8
        .value_kind:     global_buffer
      - .offset:         8
        .size:           4
        .value_kind:     by_value
    .group_segment_fixed_size: 2048
    .kernarg_segment_align: 8
    .kernarg_segment_size: 12
    .language:       OpenCL C
    .language_version:
      - 2
      - 0
    .max_flat_workgroup_size: 1024
    .name:           _Z11firstColGPUPji
    .private_segment_fixed_size: 0
    .sgpr_count:     10
    .sgpr_spill_count: 0
    .symbol:         _Z11firstColGPUPji.kd
    .uniform_work_group_size: 1
    .uses_dynamic_stack: false
    .vgpr_count:     26
    .vgpr_spill_count: 0
    .wavefront_size: 64
  - .agpr_count:     0
    .args:
      - .address_space:  global
        .offset:         0
        .size:           8
        .value_kind:     global_buffer
      - .offset:         8
        .size:           4
        .value_kind:     by_value
    .group_segment_fixed_size: 3072
    .kernarg_segment_align: 8
    .kernarg_segment_size: 12
    .language:       OpenCL C
    .language_version:
      - 2
      - 0
    .max_flat_workgroup_size: 1024
    .name:           _Z7colYGPUPji
    .private_segment_fixed_size: 0
    .sgpr_count:     10
    .sgpr_spill_count: 0
    .symbol:         _Z7colYGPUPji.kd
    .uniform_work_group_size: 1
    .uses_dynamic_stack: false
    .vgpr_count:     33
    .vgpr_spill_count: 0
    .wavefront_size: 64
  - .agpr_count:     0
    .args:
      - .address_space:  global
        .offset:         0
        .size:           8
        .value_kind:     global_buffer
      - .actual_access:  read_only
        .address_space:  global
        .offset:         8
        .size:           8
        .value_kind:     global_buffer
      - .offset:         16
        .size:           4
        .value_kind:     by_value
      - .offset:         20
        .size:           4
        .value_kind:     by_value
    .group_segment_fixed_size: 9216
    .kernarg_segment_align: 8
    .kernarg_segment_size: 24
    .language:       OpenCL C
    .language_version:
      - 2
      - 0
    .max_flat_workgroup_size: 1024
    .name:           _Z10lastEntGPUPjS_ii
    .private_segment_fixed_size: 0
    .sgpr_count:     26
    .sgpr_spill_count: 0
    .symbol:         _Z10lastEntGPUPjS_ii.kd
    .uniform_work_group_size: 1
    .uses_dynamic_stack: false
    .vgpr_count:     65
    .vgpr_spill_count: 0
    .wavefront_size: 64
  - .agpr_count:     0
    .args:
      - .address_space:  global
        .offset:         0
        .size:           8
        .value_kind:     global_buffer
      - .offset:         8
        .size:           4
        .value_kind:     by_value
      - .offset:         12
        .size:           4
        .value_kind:     by_value
      - .offset:         16
        .size:           4
        .value_kind:     hidden_block_count_x
      - .offset:         20
        .size:           4
        .value_kind:     hidden_block_count_y
      - .offset:         24
        .size:           4
        .value_kind:     hidden_block_count_z
      - .offset:         28
        .size:           2
        .value_kind:     hidden_group_size_x
      - .offset:         30
        .size:           2
        .value_kind:     hidden_group_size_y
      - .offset:         32
        .size:           2
        .value_kind:     hidden_group_size_z
      - .offset:         34
        .size:           2
        .value_kind:     hidden_remainder_x
      - .offset:         36
        .size:           2
        .value_kind:     hidden_remainder_y
      - .offset:         38
        .size:           2
        .value_kind:     hidden_remainder_z
      - .offset:         56
        .size:           8
        .value_kind:     hidden_global_offset_x
      - .offset:         64
        .size:           8
        .value_kind:     hidden_global_offset_y
      - .offset:         72
        .size:           8
        .value_kind:     hidden_global_offset_z
      - .offset:         80
        .size:           2
        .value_kind:     hidden_grid_dims
    .group_segment_fixed_size: 16384
    .kernarg_segment_align: 8
    .kernarg_segment_size: 272
    .language:       OpenCL C
    .language_version:
      - 2
      - 0
    .max_flat_workgroup_size: 1024
    .name:           _Z7colsGPUPjii
    .private_segment_fixed_size: 0
    .sgpr_count:     19
    .sgpr_spill_count: 0
    .symbol:         _Z7colsGPUPjii.kd
    .uniform_work_group_size: 1
    .uses_dynamic_stack: false
    .vgpr_count:     35
    .vgpr_spill_count: 0
    .wavefront_size: 64
amdhsa.target:   amdgcn-amd-amdhsa--gfx90a
amdhsa.version:
  - 1
  - 2
...

	.end_amdgpu_metadata
